;; amdgpu-corpus repo=ROCm/rocFFT kind=compiled arch=gfx950 opt=O3
	.text
	.amdgcn_target "amdgcn-amd-amdhsa--gfx950"
	.amdhsa_code_object_version 6
	.protected	fft_rtc_back_len52_factors_4_13_wgs_117_tpt_13_halfLds_dim1_sp_op_CI_CI_unitstride_sbrr_R2C_dirReg ; -- Begin function fft_rtc_back_len52_factors_4_13_wgs_117_tpt_13_halfLds_dim1_sp_op_CI_CI_unitstride_sbrr_R2C_dirReg
	.globl	fft_rtc_back_len52_factors_4_13_wgs_117_tpt_13_halfLds_dim1_sp_op_CI_CI_unitstride_sbrr_R2C_dirReg
	.p2align	8
	.type	fft_rtc_back_len52_factors_4_13_wgs_117_tpt_13_halfLds_dim1_sp_op_CI_CI_unitstride_sbrr_R2C_dirReg,@function
fft_rtc_back_len52_factors_4_13_wgs_117_tpt_13_halfLds_dim1_sp_op_CI_CI_unitstride_sbrr_R2C_dirReg: ; @fft_rtc_back_len52_factors_4_13_wgs_117_tpt_13_halfLds_dim1_sp_op_CI_CI_unitstride_sbrr_R2C_dirReg
; %bb.0:
	v_mul_u32_u24_e32 v1, 0x13b2, v0
	v_lshrrev_b32_e32 v2, 16, v1
	s_load_dwordx2 s[6:7], s[0:1], 0x20
	v_mad_u64_u32 v[20:21], s[2:3], s2, 9, v[2:3]
	s_mov_b32 s2, 0x38e38e39
	s_nop 0
	v_mul_hi_u32 v1, v20, s2
	v_lshrrev_b32_e32 v1, 1, v1
	v_mov_b32_e32 v21, 0
	v_lshl_add_u32 v1, v1, 3, v1
	s_movk_i32 s4, 0x13b2
	v_sub_u32_e32 v1, v20, v1
	s_waitcnt lgkmcnt(0)
	v_cmp_gt_u64_e32 vcc, s[6:7], v[20:21]
	v_cmp_le_u64_e64 s[2:3], s[6:7], v[20:21]
                                        ; implicit-def: $vgpr23
                                        ; implicit-def: $vgpr22
	s_and_saveexec_b64 s[6:7], s[2:3]
	s_xor_b64 s[2:3], exec, s[6:7]
; %bb.1:
	v_mul_u32_u24_sdwa v2, v0, s4 dst_sel:DWORD dst_unused:UNUSED_PAD src0_sel:WORD_0 src1_sel:DWORD
	v_mov_b32_e32 v3, 13
	v_mul_lo_u16_sdwa v2, v2, v3 dst_sel:DWORD dst_unused:UNUSED_PAD src0_sel:WORD_1 src1_sel:DWORD
	v_sub_u16_e32 v23, v0, v2
	v_sub_u16_e32 v22, v0, v2
                                        ; implicit-def: $vgpr2
                                        ; implicit-def: $vgpr0
; %bb.2:
	s_or_saveexec_b64 s[2:3], s[2:3]
	s_load_dwordx2 s[4:5], s[0:1], 0x18
	v_mul_u32_u24_e32 v1, 53, v1
	v_lshlrev_b32_e32 v1, 3, v1
                                        ; implicit-def: $vgpr24
	s_xor_b64 exec, exec, s[2:3]
	s_cbranch_execz .LBB0_4
; %bb.3:
	s_load_dwordx2 s[6:7], s[0:1], 0x10
	s_load_dwordx2 s[8:9], s[0:1], 0x50
	v_mul_lo_u16_e32 v14, 13, v2
	v_sub_u16_e32 v22, v0, v14
	v_mov_b32_e32 v3, 0
	s_waitcnt lgkmcnt(0)
	s_load_dwordx2 s[6:7], s[6:7], 0x8
	v_lshlrev_b32_e32 v2, 3, v22
	v_sub_u16_e32 v23, v0, v14
	v_add3_u32 v0, 0, v1, v2
	v_mov_b32_e32 v24, v22
	s_waitcnt lgkmcnt(0)
	v_mad_u64_u32 v[4:5], s[10:11], s6, v20, 0
	v_mov_b32_e32 v6, v5
	v_mad_u64_u32 v[6:7], s[6:7], s7, v20, v[6:7]
	v_mov_b32_e32 v5, v6
	v_lshl_add_u64 v[4:5], v[4:5], 3, s[8:9]
	v_lshl_add_u64 v[4:5], v[4:5], 0, v[2:3]
	global_load_dwordx2 v[6:7], v[4:5], off
	global_load_dwordx2 v[8:9], v[4:5], off offset:104
	global_load_dwordx2 v[10:11], v[4:5], off offset:208
	;; [unrolled: 1-line block ×3, first 2 shown]
	s_waitcnt vmcnt(2)
	ds_write2_b64 v0, v[6:7], v[8:9] offset1:13
	s_waitcnt vmcnt(0)
	ds_write2_b64 v0, v[10:11], v[12:13] offset0:26 offset1:39
.LBB0_4:
	s_or_b64 exec, exec, s[2:3]
	v_lshlrev_b32_e32 v80, 3, v22
	v_add_u32_e32 v21, 0, v1
	v_add3_u32 v81, 0, v80, v1
	s_waitcnt lgkmcnt(0)
	s_load_dwordx2 s[4:5], s[4:5], 0x8
	s_waitcnt lgkmcnt(0)
	s_barrier
	v_add_u32_e32 v25, v21, v80
	ds_read2_b64 v[0:3], v81 offset0:13 offset1:26
	ds_read_b64 v[4:5], v25
	ds_read_b64 v[6:7], v81 offset:312
	s_load_dwordx2 s[6:7], s[0:1], 0x0
	v_cmp_gt_u16_e64 s[2:3], 4, v23
	s_waitcnt lgkmcnt(0)
	v_pk_add_f32 v[2:3], v[4:5], v[2:3] neg_lo:[0,1] neg_hi:[0,1]
	v_pk_add_f32 v[6:7], v[0:1], v[6:7] neg_lo:[0,1] neg_hi:[0,1]
	v_pk_fma_f32 v[4:5], v[4:5], 2.0, v[2:3] op_sel_hi:[1,0,1] neg_lo:[0,0,1] neg_hi:[0,0,1]
	v_pk_fma_f32 v[0:1], v[0:1], 2.0, v[6:7] op_sel_hi:[1,0,1] neg_lo:[0,0,1] neg_hi:[0,0,1]
	v_pk_add_f32 v[32:33], v[2:3], v[6:7] op_sel:[0,1] op_sel_hi:[1,0]
	v_pk_add_f32 v[30:31], v[4:5], v[0:1] neg_lo:[0,1] neg_hi:[0,1]
	v_pk_add_f32 v[0:1], v[2:3], v[6:7] op_sel:[0,1] op_sel_hi:[1,0] neg_lo:[0,1] neg_hi:[0,1]
	v_pk_fma_f32 v[26:27], v[4:5], 2.0, v[30:31] op_sel_hi:[1,0,1] neg_lo:[0,0,1] neg_hi:[0,0,1]
	v_mov_b32_e32 v33, v1
	v_mad_u32_u24 v4, v22, 24, v81
	v_pk_fma_f32 v[28:29], v[2:3], 2.0, v[32:33] op_sel_hi:[1,0,1] neg_lo:[0,0,1] neg_hi:[0,0,1]
	s_barrier
	ds_write2_b64 v4, v[26:27], v[28:29] offset1:1
	ds_write2_b64 v4, v[30:31], v[32:33] offset0:2 offset1:3
	s_waitcnt lgkmcnt(0)
	s_barrier
	s_waitcnt lgkmcnt(0)
                                        ; implicit-def: $vgpr7
                                        ; implicit-def: $vgpr18
                                        ; implicit-def: $vgpr14
                                        ; implicit-def: $vgpr10
	s_and_saveexec_b64 s[8:9], s[2:3]
	s_cbranch_execz .LBB0_6
; %bb.5:
	ds_read_b64 v[26:27], v25
	ds_read2_b64 v[28:31], v81 offset0:4 offset1:8
	ds_read2_b64 v[0:3], v81 offset0:12 offset1:16
	;; [unrolled: 1-line block ×6, first 2 shown]
	s_waitcnt lgkmcnt(4)
	v_mov_b32_e32 v32, v0
.LBB0_6:
	s_or_b64 exec, exec, s[8:9]
	s_waitcnt lgkmcnt(0)
	s_barrier
	s_and_saveexec_b64 s[8:9], s[2:3]
	s_cbranch_execz .LBB0_8
; %bb.7:
	v_and_b32_e32 v0, 3, v22
	v_mul_u32_u24_e32 v0, 12, v0
	v_lshlrev_b32_e32 v0, 3, v0
	global_load_dwordx4 v[34:37], v0, s[6:7] offset:80
	global_load_dwordx4 v[38:41], v0, s[6:7] offset:64
	;; [unrolled: 1-line block ×4, first 2 shown]
	global_load_dwordx4 v[50:53], v0, s[6:7]
	global_load_dwordx4 v[56:59], v0, s[6:7] offset:16
	v_mov_b32_e32 v0, v19
	v_mov_b32_e32 v54, v17
	;; [unrolled: 1-line block ×13, first 2 shown]
	s_mov_b32 s14, 0xbeedf032
	v_mov_b32_e32 v70, v9
	s_mov_b32 s10, 0x3f62ad3f
	s_mov_b32 s12, 0xbf52af12
	s_mov_b32 s2, 0x3f116cb1
	s_mov_b32 s30, 0xbf7e222b
	s_mov_b32 s18, 0xbf6f5d39
	s_mov_b32 s16, 0xbeb58ec6
	s_mov_b32 s22, 0xbf29c268
	s_mov_b32 s20, 0xbf3f9e67
	s_mov_b32 s26, 0xbe750f2a
	s_mov_b32 s24, 0xbf788fa5
	s_mov_b32 s36, 0x3f29c268
	s_mov_b32 s28, 0x3f7e222b
	s_mov_b32 s34, 0x3eedf032
	s_mov_b32 s38, 0x3f6f5d39
	s_waitcnt vmcnt(5)
	v_pk_mul_f32 v[0:1], v[0:1], v[36:37] op_sel_hi:[0,1]
	v_pk_mul_f32 v[54:55], v[54:55], v[34:35] op_sel_hi:[0,1]
	s_waitcnt vmcnt(4)
	v_pk_mul_f32 v[60:61], v[60:61], v[40:41] op_sel_hi:[0,1]
	v_pk_mul_f32 v[62:63], v[62:63], v[38:39] op_sel_hi:[0,1]
	s_waitcnt vmcnt(3)
	v_pk_mul_f32 v[68:69], v[68:69], v[44:45] op_sel_hi:[0,1]
	s_waitcnt vmcnt(2)
	;; [unrolled: 2-line block ×4, first 2 shown]
	v_mov_b32_e32 v88, v59
	v_mov_b32_e32 v89, v58
	v_pk_mul_f32 v[2:3], v[2:3], v[58:59] op_sel_hi:[0,1]
	v_pk_mul_f32 v[58:59], v[84:85], v[56:57] op_sel_hi:[0,1]
	v_pk_fma_f32 v[28:29], v[18:19], v[36:37], v[0:1] op_sel:[0,0,1] op_sel_hi:[1,1,0]
	v_pk_fma_f32 v[0:1], v[18:19], v[36:37], v[0:1] op_sel:[0,0,1] op_sel_hi:[0,1,0] neg_lo:[1,0,0] neg_hi:[1,0,0]
	v_pk_fma_f32 v[18:19], v[16:17], v[34:35], v[54:55] op_sel:[0,0,1] op_sel_hi:[1,1,0]
	v_pk_fma_f32 v[84:85], v[16:17], v[34:35], v[54:55] op_sel:[0,0,1] op_sel_hi:[0,1,0] neg_lo:[1,0,0] neg_hi:[1,0,0]
	;; [unrolled: 2-line block ×7, first 2 shown]
	v_pk_mul_f32 v[76:77], v[76:77], v[52:53] op_sel_hi:[0,1]
	v_mov_b32_e32 v29, v1
	v_mov_b32_e32 v49, v45
	v_pk_fma_f32 v[50:51], v[30:31], v[52:53], v[76:77] op_sel:[0,0,1] op_sel_hi:[1,1,0]
	v_pk_fma_f32 v[30:31], v[30:31], v[52:53], v[76:77] op_sel:[0,0,1] op_sel_hi:[0,1,0] neg_lo:[1,0,0] neg_hi:[1,0,0]
	v_pk_fma_f32 v[52:53], v[78:79], v[88:89], v[2:3]
	v_pk_fma_f32 v[2:3], v[82:83], v[88:89], v[2:3] op_sel_hi:[0,1,1] neg_lo:[0,0,1] neg_hi:[0,0,1]
	v_mov_b32_e32 v19, v85
	v_pk_add_f32 v[84:85], v[48:49], v[28:29] neg_lo:[0,1] neg_hi:[0,1]
	v_pk_mul_f32 v[66:67], v[66:67], v[42:43] op_sel_hi:[0,1]
	v_mov_b32_e32 v53, v3
	v_mov_b32_e32 v51, v31
	v_pk_add_f32 v[82:83], v[48:49], v[28:29]
	v_pk_mul_f32 v[2:3], v[84:85], s[14:15] op_sel_hi:[1,0]
	v_pk_mul_f32 v[70:71], v[70:71], v[46:47] op_sel_hi:[0,1]
	v_pk_fma_f32 v[36:37], v[4:5], v[42:43], v[66:67] op_sel:[0,0,1] op_sel_hi:[1,1,0]
	v_pk_fma_f32 v[4:5], v[4:5], v[42:43], v[66:67] op_sel:[0,0,1] op_sel_hi:[0,1,0] neg_lo:[1,0,0] neg_hi:[1,0,0]
	v_pk_add_f32 v[88:89], v[50:51], v[18:19] neg_lo:[0,1] neg_hi:[0,1]
	v_pk_fma_f32 v[0:1], v[82:83], s[10:11], v[2:3] op_sel:[0,0,1] op_sel_hi:[1,0,0]
	v_pk_fma_f32 v[2:3], v[82:83], s[10:11], v[2:3] op_sel:[0,0,1] op_sel_hi:[1,0,0] neg_lo:[0,0,1] neg_hi:[0,0,1]
	v_pk_fma_f32 v[42:43], v[8:9], v[46:47], v[70:71] op_sel:[0,0,1] op_sel_hi:[1,1,0]
	v_pk_fma_f32 v[8:9], v[8:9], v[46:47], v[70:71] op_sel:[0,0,1] op_sel_hi:[0,1,0] neg_lo:[1,0,0] neg_hi:[1,0,0]
	;; [unrolled: 2-line block ×3, first 2 shown]
	v_mov_b32_e32 v37, v5
	v_mov_b32_e32 v39, v7
	v_pk_add_f32 v[86:87], v[50:51], v[18:19]
	v_pk_mul_f32 v[6:7], v[88:89], s[12:13] op_sel_hi:[1,0]
	v_mov_b32_e32 v4, v0
	v_mov_b32_e32 v5, v3
	;; [unrolled: 1-line block ×5, first 2 shown]
	v_pk_add_f32 v[8:9], v[26:27], v[4:5]
	v_pk_fma_f32 v[4:5], v[86:87], s[2:3], v[6:7] op_sel:[0,0,1] op_sel_hi:[1,0,0]
	v_pk_fma_f32 v[6:7], v[86:87], s[2:3], v[6:7] op_sel:[0,0,1] op_sel_hi:[1,0,0] neg_lo:[0,0,1] neg_hi:[0,0,1]
	v_mov_b32_e32 v41, v11
	v_pk_add_f32 v[92:93], v[54:55], v[16:17] neg_lo:[0,1] neg_hi:[0,1]
	v_mov_b32_e32 v10, v4
	v_mov_b32_e32 v11, v7
	;; [unrolled: 1-line block ×3, first 2 shown]
	v_pk_add_f32 v[90:91], v[54:55], v[16:17]
	v_pk_add_f32 v[12:13], v[10:11], v[8:9]
	s_mov_b32 s14, 0x3df6dbef
	v_pk_mul_f32 v[10:11], v[92:93], s[30:31] op_sel_hi:[1,0]
	v_pk_add_f32 v[96:97], v[52:53], v[34:35] neg_lo:[0,1] neg_hi:[0,1]
	v_pk_fma_f32 v[8:9], v[90:91], s[14:15], v[10:11] op_sel:[0,0,1] op_sel_hi:[1,0,0]
	v_pk_fma_f32 v[10:11], v[90:91], s[14:15], v[10:11] op_sel:[0,0,1] op_sel_hi:[1,0,0] neg_lo:[0,0,1] neg_hi:[0,0,1]
	v_mov_b32_e32 v14, v8
	v_mov_b32_e32 v15, v11
	v_pk_add_f32 v[94:95], v[52:53], v[34:35]
	v_pk_add_f32 v[30:31], v[14:15], v[12:13]
	v_pk_mul_f32 v[14:15], v[96:97], s[18:19] op_sel_hi:[1,0]
	v_pk_add_f32 v[100:101], v[36:37], v[40:41] neg_lo:[0,1] neg_hi:[0,1]
	v_pk_fma_f32 v[12:13], v[94:95], s[16:17], v[14:15] op_sel:[0,0,1] op_sel_hi:[1,0,0]
	v_pk_fma_f32 v[14:15], v[94:95], s[16:17], v[14:15] op_sel:[0,0,1] op_sel_hi:[1,0,0] neg_lo:[0,0,1] neg_hi:[0,0,1]
	v_mov_b32_e32 v32, v12
	v_mov_b32_e32 v33, v15
	v_pk_add_f32 v[44:45], v[32:33], v[30:31]
	v_pk_add_f32 v[98:99], v[36:37], v[40:41]
	;; [unrolled: 8-line block ×3, first 2 shown]
	v_pk_mul_f32 v[46:47], v[104:105], s[26:27] op_sel_hi:[1,0]
	v_pk_mul_f32 v[62:63], v[88:89], s[18:19] op_sel_hi:[1,0]
	v_pk_fma_f32 v[44:45], v[102:103], s[24:25], v[46:47] op_sel:[0,0,1] op_sel_hi:[1,0,0]
	v_pk_fma_f32 v[46:47], v[102:103], s[24:25], v[46:47] op_sel:[0,0,1] op_sel_hi:[1,0,0] neg_lo:[0,0,1] neg_hi:[0,0,1]
	v_mov_b32_e32 v58, v44
	v_mov_b32_e32 v59, v47
	v_pk_add_f32 v[106:107], v[58:59], v[56:57]
	v_pk_mul_f32 v[58:59], v[84:85], s[12:13] op_sel_hi:[1,0]
	v_pk_mul_f32 v[112:113], v[88:89], s[26:27] op_sel_hi:[1,0]
	v_pk_fma_f32 v[56:57], v[82:83], s[2:3], v[58:59] op_sel:[0,0,1] op_sel_hi:[1,0,0]
	v_pk_fma_f32 v[58:59], v[82:83], s[2:3], v[58:59] op_sel:[0,0,1] op_sel_hi:[1,0,0] neg_lo:[0,0,1] neg_hi:[0,0,1]
	v_mov_b32_e32 v60, v56
	v_mov_b32_e32 v61, v59
	v_pk_add_f32 v[64:65], v[26:27], v[60:61]
	v_pk_fma_f32 v[60:61], v[86:87], s[16:17], v[62:63] op_sel:[0,0,1] op_sel_hi:[1,0,0]
	v_pk_fma_f32 v[62:63], v[86:87], s[16:17], v[62:63] op_sel:[0,0,1] op_sel_hi:[1,0,0] neg_lo:[0,0,1] neg_hi:[0,0,1]
	v_mov_b32_e32 v66, v60
	v_mov_b32_e32 v67, v63
	v_pk_add_f32 v[68:69], v[66:67], v[64:65]
	v_pk_mul_f32 v[66:67], v[92:93], s[26:27] op_sel_hi:[1,0]
	v_pk_fma_f32 v[114:115], v[86:87], s[24:25], v[112:113] op_sel:[0,0,1] op_sel_hi:[1,0,0]
	v_pk_fma_f32 v[64:65], v[90:91], s[24:25], v[66:67] op_sel:[0,0,1] op_sel_hi:[1,0,0]
	v_pk_fma_f32 v[66:67], v[90:91], s[24:25], v[66:67] op_sel:[0,0,1] op_sel_hi:[1,0,0] neg_lo:[0,0,1] neg_hi:[0,0,1]
	v_mov_b32_e32 v70, v64
	v_mov_b32_e32 v71, v67
	v_pk_add_f32 v[72:73], v[70:71], v[68:69]
	v_pk_mul_f32 v[70:71], v[96:97], s[36:37] op_sel_hi:[1,0]
	v_pk_fma_f32 v[112:113], v[86:87], s[24:25], v[112:113] op_sel:[0,0,1] op_sel_hi:[1,0,0] neg_lo:[0,0,1] neg_hi:[0,0,1]
	v_pk_fma_f32 v[68:69], v[94:95], s[20:21], v[70:71] op_sel:[0,0,1] op_sel_hi:[1,0,0]
	v_pk_fma_f32 v[70:71], v[94:95], s[20:21], v[70:71] op_sel:[0,0,1] op_sel_hi:[1,0,0] neg_lo:[0,0,1] neg_hi:[0,0,1]
	v_mov_b32_e32 v74, v68
	v_mov_b32_e32 v75, v71
	v_pk_add_f32 v[76:77], v[74:75], v[72:73]
	v_pk_mul_f32 v[74:75], v[100:101], s[28:29] op_sel_hi:[1,0]
	v_mov_b32_e32 v116, v114
	v_pk_fma_f32 v[72:73], v[98:99], s[14:15], v[74:75] op_sel:[0,0,1] op_sel_hi:[1,0,0]
	v_pk_fma_f32 v[74:75], v[98:99], s[14:15], v[74:75] op_sel:[0,0,1] op_sel_hi:[1,0,0] neg_lo:[0,0,1] neg_hi:[0,0,1]
	v_mov_b32_e32 v78, v72
	v_mov_b32_e32 v79, v75
	v_pk_add_f32 v[108:109], v[78:79], v[76:77]
	v_pk_mul_f32 v[78:79], v[104:105], s[34:35] op_sel_hi:[1,0]
	v_mov_b32_e32 v117, v113
	v_pk_fma_f32 v[76:77], v[102:103], s[10:11], v[78:79] op_sel:[0,0,1] op_sel_hi:[1,0,0]
	v_pk_fma_f32 v[78:79], v[102:103], s[10:11], v[78:79] op_sel:[0,0,1] op_sel_hi:[1,0,0] neg_lo:[0,0,1] neg_hi:[0,0,1]
	v_mov_b32_e32 v110, v76
	v_mov_b32_e32 v111, v79
	v_pk_add_f32 v[108:109], v[110:111], v[108:109]
	ds_write2_b64 v81, v[106:107], v[108:109] offset0:4 offset1:8
	v_pk_mul_f32 v[106:107], v[84:85], s[30:31] op_sel_hi:[1,0]
	v_pk_mul_f32 v[138:139], v[88:89], s[36:37] op_sel_hi:[1,0]
	v_pk_fma_f32 v[108:109], v[82:83], s[14:15], v[106:107] op_sel:[0,0,1] op_sel_hi:[1,0,0]
	v_pk_fma_f32 v[106:107], v[82:83], s[14:15], v[106:107] op_sel:[0,0,1] op_sel_hi:[1,0,0] neg_lo:[0,0,1] neg_hi:[0,0,1]
	v_mov_b32_e32 v110, v108
	v_mov_b32_e32 v111, v107
	v_pk_add_f32 v[110:111], v[26:27], v[110:111]
	v_pk_fma_f32 v[140:141], v[86:87], s[20:21], v[138:139] op_sel:[0,0,1] op_sel_hi:[1,0,0]
	v_pk_add_f32 v[110:111], v[116:117], v[110:111]
	v_pk_mul_f32 v[116:117], v[92:93], s[38:39] op_sel_hi:[1,0]
	v_pk_fma_f32 v[138:139], v[86:87], s[20:21], v[138:139] op_sel:[0,0,1] op_sel_hi:[1,0,0] neg_lo:[0,0,1] neg_hi:[0,0,1]
	v_pk_fma_f32 v[118:119], v[90:91], s[16:17], v[116:117] op_sel:[0,0,1] op_sel_hi:[1,0,0]
	v_pk_fma_f32 v[116:117], v[90:91], s[16:17], v[116:117] op_sel:[0,0,1] op_sel_hi:[1,0,0] neg_lo:[0,0,1] neg_hi:[0,0,1]
	v_mov_b32_e32 v120, v118
	v_mov_b32_e32 v121, v117
	v_pk_add_f32 v[110:111], v[120:121], v[110:111]
	v_pk_mul_f32 v[120:121], v[96:97], s[34:35] op_sel_hi:[1,0]
	v_mov_b32_e32 v142, v140
	v_pk_fma_f32 v[122:123], v[94:95], s[10:11], v[120:121] op_sel:[0,0,1] op_sel_hi:[1,0,0]
	v_pk_fma_f32 v[120:121], v[94:95], s[10:11], v[120:121] op_sel:[0,0,1] op_sel_hi:[1,0,0] neg_lo:[0,0,1] neg_hi:[0,0,1]
	v_mov_b32_e32 v124, v122
	v_mov_b32_e32 v125, v121
	v_pk_add_f32 v[110:111], v[124:125], v[110:111]
	v_pk_mul_f32 v[124:125], v[100:101], s[12:13] op_sel_hi:[1,0]
	v_mov_b32_e32 v143, v139
	v_pk_fma_f32 v[126:127], v[98:99], s[2:3], v[124:125] op_sel:[0,0,1] op_sel_hi:[1,0,0]
	v_pk_fma_f32 v[124:125], v[98:99], s[2:3], v[124:125] op_sel:[0,0,1] op_sel_hi:[1,0,0] neg_lo:[0,0,1] neg_hi:[0,0,1]
	v_mov_b32_e32 v128, v126
	v_mov_b32_e32 v129, v125
	v_pk_add_f32 v[110:111], v[128:129], v[110:111]
	v_pk_mul_f32 v[128:129], v[104:105], s[22:23] op_sel_hi:[1,0]
	s_mov_b32 s36, 0x3f52af12
	v_pk_fma_f32 v[130:131], v[102:103], s[20:21], v[128:129] op_sel:[0,0,1] op_sel_hi:[1,0,0]
	v_pk_fma_f32 v[128:129], v[102:103], s[20:21], v[128:129] op_sel:[0,0,1] op_sel_hi:[1,0,0] neg_lo:[0,0,1] neg_hi:[0,0,1]
	v_mov_b32_e32 v132, v130
	v_mov_b32_e32 v133, v129
	v_pk_add_f32 v[110:111], v[132:133], v[110:111]
	v_pk_mul_f32 v[132:133], v[84:85], s[18:19] op_sel_hi:[1,0]
	v_pk_mul_f32 v[160:161], v[88:89], s[28:29] op_sel_hi:[1,0]
	v_pk_fma_f32 v[134:135], v[82:83], s[16:17], v[132:133] op_sel:[0,0,1] op_sel_hi:[1,0,0]
	v_pk_fma_f32 v[132:133], v[82:83], s[16:17], v[132:133] op_sel:[0,0,1] op_sel_hi:[1,0,0] neg_lo:[0,0,1] neg_hi:[0,0,1]
	v_mov_b32_e32 v136, v134
	v_mov_b32_e32 v137, v133
	v_pk_add_f32 v[136:137], v[26:27], v[136:137]
	v_pk_fma_f32 v[162:163], v[86:87], s[14:15], v[160:161] op_sel:[0,0,1] op_sel_hi:[1,0,0]
	v_pk_add_f32 v[136:137], v[142:143], v[136:137]
	v_pk_mul_f32 v[142:143], v[92:93], s[34:35] op_sel_hi:[1,0]
	v_pk_fma_f32 v[160:161], v[86:87], s[14:15], v[160:161] op_sel:[0,0,1] op_sel_hi:[1,0,0] neg_lo:[0,0,1] neg_hi:[0,0,1]
	v_pk_fma_f32 v[144:145], v[90:91], s[10:11], v[142:143] op_sel:[0,0,1] op_sel_hi:[1,0,0]
	v_pk_fma_f32 v[142:143], v[90:91], s[10:11], v[142:143] op_sel:[0,0,1] op_sel_hi:[1,0,0] neg_lo:[0,0,1] neg_hi:[0,0,1]
	v_mov_b32_e32 v146, v144
	v_mov_b32_e32 v147, v143
	v_pk_add_f32 v[136:137], v[146:147], v[136:137]
	v_pk_mul_f32 v[146:147], v[96:97], s[30:31] op_sel_hi:[1,0]
	s_mov_b32 s30, 0x3e750f2a
	v_pk_fma_f32 v[148:149], v[94:95], s[14:15], v[146:147] op_sel:[0,0,1] op_sel_hi:[1,0,0]
	v_pk_fma_f32 v[146:147], v[94:95], s[14:15], v[146:147] op_sel:[0,0,1] op_sel_hi:[1,0,0] neg_lo:[0,0,1] neg_hi:[0,0,1]
	v_mov_b32_e32 v150, v148
	v_mov_b32_e32 v151, v147
	v_pk_add_f32 v[136:137], v[150:151], v[136:137]
	v_pk_mul_f32 v[150:151], v[100:101], s[30:31] op_sel_hi:[1,0]
	v_mov_b32_e32 v164, v162
	v_pk_fma_f32 v[152:153], v[98:99], s[24:25], v[150:151] op_sel:[0,0,1] op_sel_hi:[1,0,0]
	v_pk_fma_f32 v[150:151], v[98:99], s[24:25], v[150:151] op_sel:[0,0,1] op_sel_hi:[1,0,0] neg_lo:[0,0,1] neg_hi:[0,0,1]
	v_mov_b32_e32 v154, v152
	v_mov_b32_e32 v155, v151
	v_pk_add_f32 v[136:137], v[154:155], v[136:137]
	v_pk_mul_f32 v[154:155], v[104:105], s[36:37] op_sel_hi:[1,0]
	v_mov_b32_e32 v165, v161
	v_pk_fma_f32 v[156:157], v[102:103], s[2:3], v[154:155] op_sel:[0,0,1] op_sel_hi:[1,0,0]
	v_pk_fma_f32 v[154:155], v[102:103], s[2:3], v[154:155] op_sel:[0,0,1] op_sel_hi:[1,0,0] neg_lo:[0,0,1] neg_hi:[0,0,1]
	v_mov_b32_e32 v158, v156
	v_mov_b32_e32 v159, v155
	v_pk_add_f32 v[136:137], v[158:159], v[136:137]
	ds_write2_b64 v81, v[110:111], v[136:137] offset0:12 offset1:16
	v_pk_mul_f32 v[110:111], v[84:85], s[22:23] op_sel_hi:[1,0]
	v_pk_add_f32 v[48:49], v[26:27], v[48:49]
	v_pk_fma_f32 v[136:137], v[82:83], s[20:21], v[110:111] op_sel:[0,0,1] op_sel_hi:[1,0,0]
	v_pk_fma_f32 v[110:111], v[82:83], s[20:21], v[110:111] op_sel:[0,0,1] op_sel_hi:[1,0,0] neg_lo:[0,0,1] neg_hi:[0,0,1]
	v_mov_b32_e32 v158, v136
	v_mov_b32_e32 v159, v111
	v_pk_add_f32 v[158:159], v[26:27], v[158:159]
	v_pk_add_f32 v[48:49], v[48:49], v[50:51]
	;; [unrolled: 1-line block ×3, first 2 shown]
	v_pk_mul_f32 v[164:165], v[92:93], s[12:13] op_sel_hi:[1,0]
	v_pk_add_f32 v[48:49], v[48:49], v[54:55]
	v_pk_fma_f32 v[166:167], v[90:91], s[2:3], v[164:165] op_sel:[0,0,1] op_sel_hi:[1,0,0]
	v_pk_fma_f32 v[164:165], v[90:91], s[2:3], v[164:165] op_sel:[0,0,1] op_sel_hi:[1,0,0] neg_lo:[0,0,1] neg_hi:[0,0,1]
	v_mov_b32_e32 v168, v166
	v_mov_b32_e32 v169, v165
	v_pk_add_f32 v[158:159], v[168:169], v[158:159]
	v_pk_mul_f32 v[168:169], v[96:97], s[30:31] op_sel_hi:[1,0]
	v_pk_add_f32 v[48:49], v[48:49], v[52:53]
	v_pk_fma_f32 v[170:171], v[94:95], s[24:25], v[168:169] op_sel:[0,0,1] op_sel_hi:[1,0,0]
	v_pk_fma_f32 v[168:169], v[94:95], s[24:25], v[168:169] op_sel:[0,0,1] op_sel_hi:[1,0,0] neg_lo:[0,0,1] neg_hi:[0,0,1]
	v_mov_b32_e32 v172, v170
	v_mov_b32_e32 v173, v169
	v_pk_add_f32 v[158:159], v[172:173], v[158:159]
	;; [unrolled: 7-line block ×3, first 2 shown]
	v_pk_add_f32 v[158:159], v[176:177], v[158:159]
	v_pk_mul_f32 v[176:177], v[104:105], s[18:19] op_sel_hi:[1,0]
	v_pk_add_f32 v[36:37], v[36:37], v[42:43]
	v_pk_fma_f32 v[178:179], v[102:103], s[16:17], v[176:177] op_sel:[0,0,1] op_sel_hi:[1,0,0]
	v_pk_fma_f32 v[176:177], v[102:103], s[16:17], v[176:177] op_sel:[0,0,1] op_sel_hi:[1,0,0] neg_lo:[0,0,1] neg_hi:[0,0,1]
	v_pk_add_f32 v[36:37], v[36:37], v[40:41]
	v_mov_b32_e32 v180, v178
	v_mov_b32_e32 v181, v177
	v_pk_mul_f32 v[84:85], v[84:85], s[26:27] op_sel_hi:[1,0]
	v_pk_add_f32 v[34:35], v[36:37], v[34:35]
	v_pk_add_f32 v[158:159], v[180:181], v[158:159]
	v_pk_fma_f32 v[180:181], v[82:83], s[24:25], v[84:85] op_sel:[0,0,1] op_sel_hi:[1,0,0]
	v_pk_fma_f32 v[82:83], v[82:83], s[24:25], v[84:85] op_sel:[0,0,1] op_sel_hi:[1,0,0] neg_lo:[0,0,1] neg_hi:[0,0,1]
	v_pk_mul_f32 v[84:85], v[88:89], s[34:35] op_sel_hi:[1,0]
	v_pk_add_f32 v[16:17], v[34:35], v[16:17]
	v_pk_fma_f32 v[88:89], v[86:87], s[10:11], v[84:85] op_sel:[0,0,1] op_sel_hi:[1,0,0]
	v_pk_fma_f32 v[84:85], v[86:87], s[10:11], v[84:85] op_sel:[0,0,1] op_sel_hi:[1,0,0] neg_lo:[0,0,1] neg_hi:[0,0,1]
	v_mov_b32_e32 v86, v180
	v_mov_b32_e32 v87, v83
	v_pk_add_f32 v[16:17], v[16:17], v[18:19]
	v_pk_add_f32 v[86:87], v[26:27], v[86:87]
	v_mov_b32_e32 v182, v88
	v_mov_b32_e32 v183, v85
	v_pk_mul_f32 v[92:93], v[92:93], s[22:23] op_sel_hi:[1,0]
	v_pk_add_f32 v[16:17], v[16:17], v[28:29]
	v_mov_b32_e32 v133, v135
	v_mov_b32_e32 v107, v109
	v_pk_add_f32 v[86:87], v[182:183], v[86:87]
	v_pk_fma_f32 v[182:183], v[90:91], s[20:21], v[92:93] op_sel:[0,0,1] op_sel_hi:[1,0,0]
	v_pk_fma_f32 v[90:91], v[90:91], s[20:21], v[92:93] op_sel:[0,0,1] op_sel_hi:[1,0,0] neg_lo:[0,0,1] neg_hi:[0,0,1]
	ds_write_b64 v25, v[16:17]
	v_mov_b32_e32 v139, v141
	v_pk_add_f32 v[16:17], v[26:27], v[132:133]
	v_mov_b32_e32 v113, v115
	v_pk_add_f32 v[18:19], v[26:27], v[106:107]
	v_mov_b32_e32 v92, v182
	v_mov_b32_e32 v93, v91
	v_pk_add_f32 v[16:17], v[138:139], v[16:17]
	v_mov_b32_e32 v143, v145
	v_pk_add_f32 v[18:19], v[112:113], v[18:19]
	;; [unrolled: 2-line block ×3, first 2 shown]
	v_pk_mul_f32 v[92:93], v[96:97], s[36:37] op_sel_hi:[1,0]
	v_pk_add_f32 v[16:17], v[142:143], v[16:17]
	v_mov_b32_e32 v147, v149
	v_pk_add_f32 v[18:19], v[116:117], v[18:19]
	v_mov_b32_e32 v121, v123
	v_pk_fma_f32 v[96:97], v[94:95], s[2:3], v[92:93] op_sel:[0,0,1] op_sel_hi:[1,0,0]
	v_pk_fma_f32 v[92:93], v[94:95], s[2:3], v[92:93] op_sel:[0,0,1] op_sel_hi:[1,0,0] neg_lo:[0,0,1] neg_hi:[0,0,1]
	v_pk_add_f32 v[16:17], v[146:147], v[16:17]
	v_mov_b32_e32 v151, v153
	v_pk_add_f32 v[18:19], v[120:121], v[18:19]
	v_mov_b32_e32 v125, v127
	v_mov_b32_e32 v94, v96
	;; [unrolled: 1-line block ×4, first 2 shown]
	v_pk_add_f32 v[16:17], v[150:151], v[16:17]
	v_mov_b32_e32 v155, v157
	v_pk_add_f32 v[18:19], v[124:125], v[18:19]
	v_mov_b32_e32 v129, v131
	v_pk_add_f32 v[86:87], v[94:95], v[86:87]
	v_pk_mul_f32 v[94:95], v[100:101], s[18:19] op_sel_hi:[1,0]
	v_mov_b32_e32 v85, v89
	v_pk_add_f32 v[82:83], v[26:27], v[82:83]
	v_mov_b32_e32 v111, v137
	v_pk_add_f32 v[16:17], v[154:155], v[16:17]
	v_pk_add_f32 v[18:19], v[128:129], v[18:19]
	v_mov_b32_e32 v59, v57
	v_mov_b32_e32 v3, v1
	v_pk_fma_f32 v[100:101], v[98:99], s[16:17], v[94:95] op_sel:[0,0,1] op_sel_hi:[1,0,0]
	v_pk_fma_f32 v[94:95], v[98:99], s[16:17], v[94:95] op_sel:[0,0,1] op_sel_hi:[1,0,0] neg_lo:[0,0,1] neg_hi:[0,0,1]
	v_pk_add_f32 v[82:83], v[84:85], v[82:83]
	v_mov_b32_e32 v161, v163
	v_pk_add_f32 v[84:85], v[26:27], v[110:111]
	ds_write2_b64 v81, v[16:17], v[18:19] offset0:36 offset1:40
	v_pk_add_f32 v[16:17], v[26:27], v[58:59]
	v_mov_b32_e32 v63, v61
	v_pk_add_f32 v[0:1], v[26:27], v[2:3]
	v_mov_b32_e32 v7, v5
	v_mov_b32_e32 v98, v100
	v_mov_b32_e32 v99, v95
	v_mov_b32_e32 v91, v183
	v_pk_add_f32 v[84:85], v[160:161], v[84:85]
	v_mov_b32_e32 v165, v167
	v_pk_add_f32 v[16:17], v[62:63], v[16:17]
	v_mov_b32_e32 v67, v65
	;; [unrolled: 2-line block ×3, first 2 shown]
	v_pk_add_f32 v[86:87], v[98:99], v[86:87]
	v_pk_mul_f32 v[98:99], v[104:105], s[28:29] op_sel_hi:[1,0]
	v_pk_add_f32 v[82:83], v[90:91], v[82:83]
	v_mov_b32_e32 v93, v97
	v_pk_add_f32 v[84:85], v[164:165], v[84:85]
	v_mov_b32_e32 v169, v171
	;; [unrolled: 2-line block ×4, first 2 shown]
	v_pk_fma_f32 v[104:105], v[102:103], s[14:15], v[98:99] op_sel:[0,0,1] op_sel_hi:[1,0,0]
	v_pk_fma_f32 v[98:99], v[102:103], s[14:15], v[98:99] op_sel:[0,0,1] op_sel_hi:[1,0,0] neg_lo:[0,0,1] neg_hi:[0,0,1]
	v_pk_add_f32 v[82:83], v[92:93], v[82:83]
	v_mov_b32_e32 v95, v101
	v_pk_add_f32 v[84:85], v[168:169], v[84:85]
	v_mov_b32_e32 v173, v175
	v_pk_add_f32 v[16:17], v[70:71], v[16:17]
	v_mov_b32_e32 v75, v73
	v_pk_add_f32 v[0:1], v[14:15], v[0:1]
	v_mov_b32_e32 v33, v31
	v_mov_b32_e32 v102, v104
	v_mov_b32_e32 v103, v99
	v_pk_add_f32 v[82:83], v[94:95], v[82:83]
	v_mov_b32_e32 v99, v105
	v_pk_add_f32 v[84:85], v[172:173], v[84:85]
	;; [unrolled: 2-line block ×5, first 2 shown]
	v_pk_add_f32 v[82:83], v[98:99], v[82:83]
	v_pk_add_f32 v[84:85], v[176:177], v[84:85]
	;; [unrolled: 1-line block ×4, first 2 shown]
	ds_write2_b64 v81, v[158:159], v[86:87] offset0:20 offset1:24
	ds_write2_b64 v81, v[82:83], v[84:85] offset0:28 offset1:32
	;; [unrolled: 1-line block ×3, first 2 shown]
.LBB0_8:
	s_or_b64 exec, exec, s[8:9]
	s_waitcnt lgkmcnt(0)
	s_barrier
	ds_read_b64 v[0:1], v25
	v_sub_u32_e32 v6, v21, v80
	v_cmp_ne_u16_e64 s[2:3], 0, v23
                                        ; implicit-def: $vgpr3
                                        ; implicit-def: $vgpr4_vgpr5
	s_and_saveexec_b64 s[8:9], s[2:3]
	s_xor_b64 s[2:3], exec, s[8:9]
	s_cbranch_execz .LBB0_10
; %bb.9:
	v_mov_b32_e32 v2, 3
	v_lshlrev_b32_sdwa v2, v2, v23 dst_sel:DWORD dst_unused:UNUSED_PAD src0_sel:DWORD src1_sel:WORD_0
	global_load_dwordx2 v[4:5], v2, s[6:7] offset:384
	ds_read_b64 v[2:3], v6 offset:416
	v_mov_b32_e32 v9, 0.5
	v_mov_b32_e32 v10, v9
	s_waitcnt lgkmcnt(0)
	v_pk_add_f32 v[12:13], v[2:3], v[0:1]
	v_pk_add_f32 v[0:1], v[0:1], v[2:3] neg_lo:[0,1] neg_hi:[0,1]
	v_mov_b32_e32 v2, v13
	v_mov_b32_e32 v3, v0
	v_pk_mul_f32 v[14:15], v[2:3], 0.5 op_sel_hi:[1,0]
	s_waitcnt vmcnt(0)
	v_mov_b32_e32 v8, v5
	v_mov_b32_e32 v0, v15
	;; [unrolled: 1-line block ×4, first 2 shown]
	v_pk_mul_f32 v[0:1], v[8:9], v[0:1]
	v_pk_mul_f32 v[16:17], v[4:5], v[14:15] op_sel_hi:[0,1]
	v_pk_fma_f32 v[8:9], v[12:13], v[10:11], v[0:1]
	v_pk_fma_f32 v[0:1], v[12:13], v[10:11], v[0:1] neg_lo:[0,0,1] neg_hi:[0,0,1]
	v_pk_fma_f32 v[2:3], v[4:5], v[14:15], v[8:9] op_sel_hi:[0,1,1] neg_lo:[1,0,0] neg_hi:[1,0,0]
	v_pk_fma_f32 v[4:5], v[4:5], v[14:15], v[0:1] op_sel_hi:[0,1,1] neg_lo:[1,0,0] neg_hi:[1,0,0]
	v_add_f32_e32 v2, v8, v16
                                        ; implicit-def: $vgpr0_vgpr1
.LBB0_10:
	s_andn2_saveexec_b64 s[2:3], s[2:3]
	s_cbranch_execz .LBB0_12
; %bb.11:
	ds_read_b32 v3, v21 offset:212
	s_waitcnt lgkmcnt(1)
	v_mov_b32_e32 v4, v1
	v_pk_add_f32 v[4:5], v[0:1], v[4:5] neg_lo:[0,1] neg_hi:[0,1]
	v_add_f32_e32 v2, v1, v0
	v_mov_b32_e32 v5, 0
	s_waitcnt lgkmcnt(0)
	v_xor_b32_e32 v0, 0x80000000, v3
	v_mov_b32_e32 v3, v5
	ds_write_b32 v21, v0 offset:212
.LBB0_12:
	s_or_b64 exec, exec, s[2:3]
	s_add_u32 s2, s6, 0x180
	s_addc_u32 s3, s7, 0
	v_mov_b32_e32 v23, 0
	s_waitcnt lgkmcnt(0)
	v_lshl_add_u64 v[0:1], v[22:23], 3, s[2:3]
	global_load_dwordx2 v[0:1], v[0:1], off offset:104
	ds_write_b64 v25, v[2:3]
	ds_write_b64 v6, v[4:5] offset:416
	ds_read_b64 v[2:3], v25 offset:104
	ds_read_b64 v[4:5], v6 offset:312
	v_mov_b32_e32 v9, 0.5
	v_mov_b32_e32 v10, v9
	s_waitcnt lgkmcnt(0)
	v_pk_add_f32 v[12:13], v[2:3], v[4:5]
	v_pk_add_f32 v[2:3], v[2:3], v[4:5] neg_lo:[0,1] neg_hi:[0,1]
	v_mov_b32_e32 v4, v13
	v_mov_b32_e32 v5, v2
	v_pk_mul_f32 v[4:5], v[4:5], 0.5 op_sel_hi:[1,0]
	s_waitcnt vmcnt(0)
	v_mov_b32_e32 v11, v1
	v_mov_b32_e32 v13, v4
	;; [unrolled: 1-line block ×4, first 2 shown]
	v_pk_mul_f32 v[10:11], v[12:13], v[10:11]
	s_nop 0
	v_pk_fma_f32 v[12:13], v[8:9], v[2:3], v[10:11] neg_lo:[1,0,0] neg_hi:[1,0,0]
	v_pk_fma_f32 v[2:3], v[8:9], v[2:3], v[10:11]
	v_pk_fma_f32 v[8:9], v[0:1], v[4:5], v[12:13] op_sel_hi:[0,1,1] neg_lo:[1,0,0] neg_hi:[1,0,0]
	v_pk_fma_f32 v[10:11], v[0:1], v[4:5], v[2:3] op_sel_hi:[0,1,1]
	v_pk_fma_f32 v[0:1], v[0:1], v[4:5], v[2:3] op_sel_hi:[0,1,1] neg_lo:[1,0,0] neg_hi:[1,0,0]
	v_mov_b32_e32 v11, v1
	ds_write_b64 v25, v[10:11] offset:104
	ds_write_b64 v6, v[8:9] offset:312
	s_waitcnt lgkmcnt(0)
	s_barrier
	s_and_saveexec_b64 s[2:3], vcc
	s_cbranch_execz .LBB0_15
; %bb.13:
	v_mad_u64_u32 v[0:1], s[2:3], s4, v20, 0
	s_load_dwordx2 s[0:1], s[0:1], 0x58
	v_mov_b32_e32 v2, v1
	v_mad_u64_u32 v[8:9], s[2:3], s5, v20, v[2:3]
	v_lshl_add_u32 v2, v24, 3, v21
	ds_read2_b64 v[4:7], v2 offset1:13
	v_mov_b32_e32 v1, v8
	v_mov_b32_e32 v25, v23
	s_waitcnt lgkmcnt(0)
	v_lshl_add_u64 v[0:1], v[0:1], 3, s[0:1]
	v_lshl_add_u64 v[8:9], v[24:25], 3, v[0:1]
	global_store_dwordx2 v[8:9], v[4:5], off
	ds_read2_b64 v[8:11], v2 offset0:26 offset1:39
	v_add_u32_e32 v22, 13, v24
	v_lshl_add_u64 v[4:5], v[22:23], 3, v[0:1]
	v_add_u32_e32 v22, 26, v24
	global_store_dwordx2 v[4:5], v[6:7], off
	v_lshl_add_u64 v[4:5], v[22:23], 3, v[0:1]
	v_add_u32_e32 v22, 39, v24
	s_waitcnt lgkmcnt(0)
	global_store_dwordx2 v[4:5], v[8:9], off
	v_lshl_add_u64 v[4:5], v[22:23], 3, v[0:1]
	v_cmp_eq_u32_e32 vcc, 12, v24
	global_store_dwordx2 v[4:5], v[10:11], off
	s_and_b64 exec, exec, vcc
	s_cbranch_execz .LBB0_15
; %bb.14:
	ds_read_b64 v[2:3], v2 offset:320
	s_waitcnt lgkmcnt(0)
	global_store_dwordx2 v[0:1], v[2:3], off offset:416
.LBB0_15:
	s_endpgm
	.section	.rodata,"a",@progbits
	.p2align	6, 0x0
	.amdhsa_kernel fft_rtc_back_len52_factors_4_13_wgs_117_tpt_13_halfLds_dim1_sp_op_CI_CI_unitstride_sbrr_R2C_dirReg
		.amdhsa_group_segment_fixed_size 0
		.amdhsa_private_segment_fixed_size 0
		.amdhsa_kernarg_size 96
		.amdhsa_user_sgpr_count 2
		.amdhsa_user_sgpr_dispatch_ptr 0
		.amdhsa_user_sgpr_queue_ptr 0
		.amdhsa_user_sgpr_kernarg_segment_ptr 1
		.amdhsa_user_sgpr_dispatch_id 0
		.amdhsa_user_sgpr_kernarg_preload_length 0
		.amdhsa_user_sgpr_kernarg_preload_offset 0
		.amdhsa_user_sgpr_private_segment_size 0
		.amdhsa_uses_dynamic_stack 0
		.amdhsa_enable_private_segment 0
		.amdhsa_system_sgpr_workgroup_id_x 1
		.amdhsa_system_sgpr_workgroup_id_y 0
		.amdhsa_system_sgpr_workgroup_id_z 0
		.amdhsa_system_sgpr_workgroup_info 0
		.amdhsa_system_vgpr_workitem_id 0
		.amdhsa_next_free_vgpr 184
		.amdhsa_next_free_sgpr 40
		.amdhsa_accum_offset 184
		.amdhsa_reserve_vcc 1
		.amdhsa_float_round_mode_32 0
		.amdhsa_float_round_mode_16_64 0
		.amdhsa_float_denorm_mode_32 3
		.amdhsa_float_denorm_mode_16_64 3
		.amdhsa_dx10_clamp 1
		.amdhsa_ieee_mode 1
		.amdhsa_fp16_overflow 0
		.amdhsa_tg_split 0
		.amdhsa_exception_fp_ieee_invalid_op 0
		.amdhsa_exception_fp_denorm_src 0
		.amdhsa_exception_fp_ieee_div_zero 0
		.amdhsa_exception_fp_ieee_overflow 0
		.amdhsa_exception_fp_ieee_underflow 0
		.amdhsa_exception_fp_ieee_inexact 0
		.amdhsa_exception_int_div_zero 0
	.end_amdhsa_kernel
	.text
.Lfunc_end0:
	.size	fft_rtc_back_len52_factors_4_13_wgs_117_tpt_13_halfLds_dim1_sp_op_CI_CI_unitstride_sbrr_R2C_dirReg, .Lfunc_end0-fft_rtc_back_len52_factors_4_13_wgs_117_tpt_13_halfLds_dim1_sp_op_CI_CI_unitstride_sbrr_R2C_dirReg
                                        ; -- End function
	.section	.AMDGPU.csdata,"",@progbits
; Kernel info:
; codeLenInByte = 4020
; NumSgprs: 46
; NumVgprs: 184
; NumAgprs: 0
; TotalNumVgprs: 184
; ScratchSize: 0
; MemoryBound: 0
; FloatMode: 240
; IeeeMode: 1
; LDSByteSize: 0 bytes/workgroup (compile time only)
; SGPRBlocks: 5
; VGPRBlocks: 22
; NumSGPRsForWavesPerEU: 46
; NumVGPRsForWavesPerEU: 184
; AccumOffset: 184
; Occupancy: 2
; WaveLimiterHint : 1
; COMPUTE_PGM_RSRC2:SCRATCH_EN: 0
; COMPUTE_PGM_RSRC2:USER_SGPR: 2
; COMPUTE_PGM_RSRC2:TRAP_HANDLER: 0
; COMPUTE_PGM_RSRC2:TGID_X_EN: 1
; COMPUTE_PGM_RSRC2:TGID_Y_EN: 0
; COMPUTE_PGM_RSRC2:TGID_Z_EN: 0
; COMPUTE_PGM_RSRC2:TIDIG_COMP_CNT: 0
; COMPUTE_PGM_RSRC3_GFX90A:ACCUM_OFFSET: 45
; COMPUTE_PGM_RSRC3_GFX90A:TG_SPLIT: 0
	.text
	.p2alignl 6, 3212836864
	.fill 256, 4, 3212836864
	.type	__hip_cuid_ae17c67fed11f391,@object ; @__hip_cuid_ae17c67fed11f391
	.section	.bss,"aw",@nobits
	.globl	__hip_cuid_ae17c67fed11f391
__hip_cuid_ae17c67fed11f391:
	.byte	0                               ; 0x0
	.size	__hip_cuid_ae17c67fed11f391, 1

	.ident	"AMD clang version 19.0.0git (https://github.com/RadeonOpenCompute/llvm-project roc-6.4.0 25133 c7fe45cf4b819c5991fe208aaa96edf142730f1d)"
	.section	".note.GNU-stack","",@progbits
	.addrsig
	.addrsig_sym __hip_cuid_ae17c67fed11f391
	.amdgpu_metadata
---
amdhsa.kernels:
  - .agpr_count:     0
    .args:
      - .actual_access:  read_only
        .address_space:  global
        .offset:         0
        .size:           8
        .value_kind:     global_buffer
      - .actual_access:  read_only
        .address_space:  global
        .offset:         8
        .size:           8
        .value_kind:     global_buffer
      - .actual_access:  read_only
        .address_space:  global
        .offset:         16
        .size:           8
        .value_kind:     global_buffer
      - .actual_access:  read_only
        .address_space:  global
        .offset:         24
        .size:           8
        .value_kind:     global_buffer
      - .offset:         32
        .size:           8
        .value_kind:     by_value
      - .actual_access:  read_only
        .address_space:  global
        .offset:         40
        .size:           8
        .value_kind:     global_buffer
      - .actual_access:  read_only
        .address_space:  global
        .offset:         48
        .size:           8
        .value_kind:     global_buffer
      - .offset:         56
        .size:           4
        .value_kind:     by_value
      - .actual_access:  read_only
        .address_space:  global
        .offset:         64
        .size:           8
        .value_kind:     global_buffer
      - .actual_access:  read_only
        .address_space:  global
        .offset:         72
        .size:           8
        .value_kind:     global_buffer
      - .actual_access:  read_only
        .address_space:  global
        .offset:         80
        .size:           8
        .value_kind:     global_buffer
      - .actual_access:  write_only
        .address_space:  global
        .offset:         88
        .size:           8
        .value_kind:     global_buffer
    .group_segment_fixed_size: 0
    .kernarg_segment_align: 8
    .kernarg_segment_size: 96
    .language:       OpenCL C
    .language_version:
      - 2
      - 0
    .max_flat_workgroup_size: 117
    .name:           fft_rtc_back_len52_factors_4_13_wgs_117_tpt_13_halfLds_dim1_sp_op_CI_CI_unitstride_sbrr_R2C_dirReg
    .private_segment_fixed_size: 0
    .sgpr_count:     46
    .sgpr_spill_count: 0
    .symbol:         fft_rtc_back_len52_factors_4_13_wgs_117_tpt_13_halfLds_dim1_sp_op_CI_CI_unitstride_sbrr_R2C_dirReg.kd
    .uniform_work_group_size: 1
    .uses_dynamic_stack: false
    .vgpr_count:     184
    .vgpr_spill_count: 0
    .wavefront_size: 64
amdhsa.target:   amdgcn-amd-amdhsa--gfx950
amdhsa.version:
  - 1
  - 2
...

	.end_amdgpu_metadata
